;; amdgpu-corpus repo=ggml-org/llama.cpp kind=compiled arch=gfx1100 opt=O3
	.text
	.amdgcn_target "amdgcn-amd-amdhsa--gfx1100"
	.amdhsa_code_object_version 6
	.section	.text._ZL23conv2d_transpose_kernelI6__halfEvPKfPKT_Pfiiiiiiiiii,"axG",@progbits,_ZL23conv2d_transpose_kernelI6__halfEvPKfPKT_Pfiiiiiiiiii,comdat
	.globl	_ZL23conv2d_transpose_kernelI6__halfEvPKfPKT_Pfiiiiiiiiii ; -- Begin function _ZL23conv2d_transpose_kernelI6__halfEvPKfPKT_Pfiiiiiiiiii
	.p2align	8
	.type	_ZL23conv2d_transpose_kernelI6__halfEvPKfPKT_Pfiiiiiiiiii,@function
_ZL23conv2d_transpose_kernelI6__halfEvPKfPKT_Pfiiiiiiiiii: ; @_ZL23conv2d_transpose_kernelI6__halfEvPKfPKT_Pfiiiiiiiiii
; %bb.0:
	s_clause 0x2
	s_load_b32 s2, s[0:1], 0x4c
	s_load_b256 s[4:11], s[0:1], 0x18
	s_load_b64 s[16:17], s[0:1], 0x38
	s_waitcnt lgkmcnt(0)
	s_and_b32 s2, s2, 0xffff
	s_mul_i32 s18, s7, s6
	v_mad_u64_u32 v[1:2], null, s15, s2, v[0:1]
	s_mul_i32 s19, s18, s16
	s_delay_alu instid0(SALU_CYCLE_1)
	s_mul_i32 s2, s19, s17
	s_delay_alu instid0(VALU_DEP_1) | instid1(SALU_CYCLE_1)
	v_cmp_gt_i32_e32 vcc_lo, s2, v1
	s_and_saveexec_b32 s2, vcc_lo
	s_cbranch_execz .LBB0_18
; %bb.1:
	s_abs_i32 s3, s6
	s_abs_i32 s7, s7
	v_cvt_f32_u32_e32 v0, s3
	v_cvt_f32_u32_e32 v7, s7
	s_sub_i32 s2, 0, s3
	s_abs_i32 s12, s18
	s_abs_i32 s14, s19
	v_rcp_iflag_f32_e32 v0, v0
	v_rcp_iflag_f32_e32 v7, v7
	v_cvt_f32_u32_e32 v2, s12
	v_sub_nc_u32_e32 v6, 0, v1
	s_abs_i32 s13, s16
	v_ashrrev_i32_e32 v5, 31, v1
	v_cvt_f32_u32_e32 v8, s13
	v_rcp_iflag_f32_e32 v2, v2
	v_max_i32_e32 v6, v1, v6
	s_sub_i32 s17, 0, s7
	s_delay_alu instid0(TRANS32_DEP_2) | instskip(SKIP_3) | instid1(VALU_DEP_1)
	v_dual_mul_f32 v0, 0x4f7ffffe, v0 :: v_dual_mul_f32 v7, 0x4f7ffffe, v7
	s_sub_i32 s21, 0, s14
	s_sub_i32 s20, 0, s13
	s_ashr_i32 s15, s18, 31
	v_cvt_u32_f32_e32 v0, v0
	v_cvt_u32_f32_e32 v7, v7
	v_xor_b32_e32 v11, s15, v5
	s_delay_alu instid0(VALU_DEP_3) | instskip(SKIP_1) | instid1(VALU_DEP_1)
	v_mul_lo_u32 v3, s2, v0
	s_sub_i32 s2, 0, s12
	v_mul_hi_u32 v3, v0, v3
	s_delay_alu instid0(VALU_DEP_1) | instskip(SKIP_1) | instid1(VALU_DEP_2)
	v_add_nc_u32_e32 v0, v0, v3
	v_cvt_f32_u32_e32 v3, s14
	v_mul_hi_u32 v0, v6, v0
	s_delay_alu instid0(VALU_DEP_2) | instskip(SKIP_1) | instid1(VALU_DEP_2)
	v_rcp_iflag_f32_e32 v3, v3
	v_mul_f32_e32 v2, 0x4f7ffffe, v2
	v_mul_lo_u32 v9, v0, s3
	s_waitcnt_depctr 0xfff
	v_dual_mul_f32 v3, 0x4f7ffffe, v3 :: v_dual_add_nc_u32 v12, 1, v0
	v_cvt_u32_f32_e32 v2, v2
	s_delay_alu instid0(VALU_DEP_2) | instskip(NEXT) | instid1(VALU_DEP_2)
	v_cvt_u32_f32_e32 v3, v3
	v_mul_lo_u32 v4, s2, v2
	v_sub_nc_u32_e32 v9, v6, v9
	s_ashr_i32 s2, s6, 31
	s_delay_alu instid0(VALU_DEP_3) | instskip(NEXT) | instid1(VALU_DEP_2)
	v_mul_lo_u32 v15, s21, v3
	v_cmp_le_u32_e32 vcc_lo, s3, v9
	s_delay_alu instid0(VALU_DEP_4) | instskip(SKIP_2) | instid1(VALU_DEP_3)
	v_mul_hi_u32 v4, v2, v4
	v_cndmask_b32_e32 v0, v0, v12, vcc_lo
	v_subrev_nc_u32_e32 v12, s3, v9
	v_add_nc_u32_e32 v2, v2, v4
	v_rcp_iflag_f32_e32 v4, v8
	v_xor_b32_e32 v8, s2, v5
	s_delay_alu instid0(VALU_DEP_3) | instskip(SKIP_2) | instid1(VALU_DEP_3)
	v_cndmask_b32_e32 v9, v9, v12, vcc_lo
	v_add_nc_u32_e32 v12, 1, v0
	v_mul_hi_u32 v2, v6, v2
	v_cmp_le_u32_e32 vcc_lo, s3, v9
	s_waitcnt_depctr 0xfff
	v_dual_mul_f32 v4, 0x4f7ffffe, v4 :: v_dual_add_nc_u32 v13, 1, v2
	v_mul_lo_u32 v10, v2, s12
	v_cndmask_b32_e32 v0, v0, v12, vcc_lo
	s_delay_alu instid0(VALU_DEP_3) | instskip(NEXT) | instid1(VALU_DEP_2)
	v_cvt_u32_f32_e32 v4, v4
	v_xor_b32_e32 v0, v0, v8
	s_delay_alu instid0(VALU_DEP_2) | instskip(SKIP_1) | instid1(VALU_DEP_3)
	v_mul_lo_u32 v9, s20, v4
	v_sub_nc_u32_e32 v10, v6, v10
	v_sub_nc_u32_e32 v0, v0, v8
	s_delay_alu instid0(VALU_DEP_2) | instskip(SKIP_2) | instid1(VALU_DEP_4)
	v_cmp_le_u32_e64 s2, s12, v10
	v_subrev_nc_u32_e32 v14, s12, v10
	v_mul_hi_u32 v8, v4, v9
	v_sub_nc_u32_e32 v9, 0, v0
	s_delay_alu instid0(VALU_DEP_4) | instskip(SKIP_3) | instid1(VALU_DEP_3)
	v_cndmask_b32_e64 v2, v2, v13, s2
	v_mul_lo_u32 v13, s17, v7
	v_cndmask_b32_e64 v10, v10, v14, s2
	s_load_b64 s[2:3], s[0:1], 0x10
	v_add_nc_u32_e32 v14, 1, v2
	v_add_nc_u32_e32 v4, v4, v8
	s_delay_alu instid0(VALU_DEP_3)
	v_cmp_le_u32_e32 vcc_lo, s12, v10
	v_mul_hi_u32 v10, v3, v15
	v_mul_hi_u32 v12, v7, v13
	v_max_i32_e32 v8, v0, v9
	s_ashr_i32 s12, s19, 31
	v_cndmask_b32_e32 v2, v2, v14, vcc_lo
	v_xor_b32_e32 v5, s12, v5
	s_cmp_lt_i32 s11, 1
	v_add_nc_u32_e32 v3, v3, v10
	v_add_nc_u32_e32 v7, v7, v12
	v_xor_b32_e32 v2, v2, v11
	s_delay_alu instid0(VALU_DEP_3) | instskip(NEXT) | instid1(VALU_DEP_3)
	v_mul_hi_u32 v3, v6, v3
	v_mul_hi_u32 v7, v8, v7
	s_delay_alu instid0(VALU_DEP_3) | instskip(SKIP_1) | instid1(VALU_DEP_2)
	v_sub_nc_u32_e32 v2, v2, v11
	v_ashrrev_i32_e32 v11, 31, v0
	v_sub_nc_u32_e32 v10, 0, v2
	s_delay_alu instid0(VALU_DEP_4) | instskip(NEXT) | instid1(VALU_DEP_2)
	v_mul_lo_u32 v7, v7, s7
	v_max_i32_e32 v9, v2, v10
	v_mul_lo_u32 v10, v3, s14
	v_ashrrev_i32_e32 v2, 31, v2
	s_delay_alu instid0(VALU_DEP_3) | instskip(SKIP_1) | instid1(VALU_DEP_4)
	v_mul_hi_u32 v4, v9, v4
	v_sub_nc_u32_e32 v7, v8, v7
	v_sub_nc_u32_e32 v6, v6, v10
	v_add_nc_u32_e32 v10, 1, v3
	s_delay_alu instid0(VALU_DEP_4) | instskip(NEXT) | instid1(VALU_DEP_3)
	v_mul_lo_u32 v4, v4, s13
	v_subrev_nc_u32_e32 v8, s14, v6
	v_cmp_le_u32_e32 vcc_lo, s14, v6
	s_delay_alu instid0(VALU_DEP_4) | instskip(NEXT) | instid1(VALU_DEP_4)
	v_cndmask_b32_e32 v3, v3, v10, vcc_lo
	v_sub_nc_u32_e32 v4, v9, v4
	v_subrev_nc_u32_e32 v9, s7, v7
	v_cndmask_b32_e32 v6, v6, v8, vcc_lo
	v_cmp_le_u32_e32 vcc_lo, s7, v7
	v_add_nc_u32_e32 v8, 1, v3
	v_subrev_nc_u32_e32 v10, s13, v4
	v_cndmask_b32_e32 v7, v7, v9, vcc_lo
	v_cmp_le_u32_e32 vcc_lo, s13, v4
	v_mul_lo_u32 v9, v0, s6
	s_delay_alu instid0(VALU_DEP_4) | instskip(NEXT) | instid1(VALU_DEP_4)
	v_cndmask_b32_e32 v4, v4, v10, vcc_lo
	v_subrev_nc_u32_e32 v10, s7, v7
	v_cmp_le_u32_e32 vcc_lo, s7, v7
	s_mov_b32 s7, 0
	s_delay_alu instid0(VALU_DEP_3) | instskip(NEXT) | instid1(VALU_DEP_3)
	v_subrev_nc_u32_e32 v0, s13, v4
	v_cndmask_b32_e32 v7, v7, v10, vcc_lo
	v_cmp_le_u32_e32 vcc_lo, s13, v4
	s_delay_alu instid0(VALU_DEP_3) | instskip(SKIP_1) | instid1(VALU_DEP_4)
	v_cndmask_b32_e32 v0, v4, v0, vcc_lo
	v_cmp_le_u32_e32 vcc_lo, s14, v6
	v_xor_b32_e32 v4, v7, v11
	s_delay_alu instid0(VALU_DEP_3) | instskip(SKIP_2) | instid1(VALU_DEP_2)
	v_xor_b32_e32 v6, v0, v2
	v_cndmask_b32_e32 v3, v3, v8, vcc_lo
	v_sub_nc_u32_e32 v0, v1, v9
	v_xor_b32_e32 v7, v3, v5
	v_sub_nc_u32_e32 v3, v4, v11
	v_sub_nc_u32_e32 v4, v6, v2
	s_delay_alu instid0(VALU_DEP_3)
	v_sub_nc_u32_e32 v5, v7, v5
	s_cbranch_scc1 .LBB0_16
; %bb.2:
	s_cmp_gt_i32 s9, 0
	s_delay_alu instid0(VALU_DEP_1)
	v_mul_lo_u32 v7, v5, s11
	s_cselect_b32 s17, -1, 0
	s_cmp_lt_i32 s8, 1
	v_mov_b32_e32 v6, 0
	s_cselect_b32 s21, -1, 0
	s_abs_i32 s20, s10
	s_xor_b32 s21, s21, -1
	v_cvt_f32_u32_e32 v1, s20
	s_sub_i32 s12, 0, s20
	s_delay_alu instid0(VALU_DEP_1) | instskip(SKIP_2) | instid1(VALU_DEP_1)
	v_rcp_iflag_f32_e32 v1, v1
	s_waitcnt_depctr 0xfff
	v_mul_f32_e32 v1, 0x4f7ffffe, v1
	v_cvt_u32_f32_e32 v1, v1
	s_delay_alu instid0(VALU_DEP_1)
	v_mul_lo_u32 v2, s12, v1
	s_load_b128 s[12:15], s[0:1], 0x0
	s_mul_i32 s0, s9, s8
	s_ashr_i32 s1, s10, 31
	v_mul_lo_u32 v8, s0, v4
	s_mul_i32 s16, s0, s16
	s_delay_alu instid0(VALU_DEP_2) | instskip(NEXT) | instid1(VALU_DEP_1)
	v_mul_hi_u32 v2, v1, v2
	v_add_nc_u32_e32 v9, v1, v2
	s_branch .LBB0_4
.LBB0_3:                                ;   in Loop: Header=BB0_4 Depth=1
	s_delay_alu instid0(VALU_DEP_1) | instskip(SKIP_1) | instid1(SALU_CYCLE_1)
	v_add_nc_u32_e32 v8, s16, v8
	s_add_i32 s7, s7, 1
	s_cmp_eq_u32 s7, s11
	s_cbranch_scc1 .LBB0_17
.LBB0_4:                                ; =>This Loop Header: Depth=1
                                        ;     Child Loop BB0_8 Depth 2
                                        ;       Child Loop BB0_13 Depth 3
	s_and_not1_b32 vcc_lo, exec_lo, s17
	s_cbranch_vccnz .LBB0_3
; %bb.5:                                ;   in Loop: Header=BB0_4 Depth=1
	v_add_nc_u32_e32 v1, s7, v7
	v_mov_b32_e32 v11, v8
	s_mov_b32 s22, 0
	s_delay_alu instid0(VALU_DEP_2)
	v_mul_lo_u32 v10, v1, s5
	s_branch .LBB0_8
.LBB0_6:                                ;   in Loop: Header=BB0_8 Depth=2
	s_or_b32 exec_lo, exec_lo, s24
.LBB0_7:                                ;   in Loop: Header=BB0_8 Depth=2
	s_delay_alu instid0(SALU_CYCLE_1) | instskip(SKIP_2) | instid1(SALU_CYCLE_1)
	s_or_b32 exec_lo, exec_lo, s23
	v_add_nc_u32_e32 v11, s8, v11
	s_add_i32 s22, s22, 1
	s_cmp_eq_u32 s22, s9
	s_cbranch_scc1 .LBB0_3
.LBB0_8:                                ;   Parent Loop BB0_4 Depth=1
                                        ; =>  This Loop Header: Depth=2
                                        ;       Child Loop BB0_13 Depth 3
	v_subrev_nc_u32_e32 v1, s22, v3
	s_mov_b32 s23, exec_lo
	s_delay_alu instid0(VALU_DEP_1)
	v_cmpx_lt_i32_e32 -1, v1
	s_cbranch_execz .LBB0_7
; %bb.9:                                ;   in Loop: Header=BB0_8 Depth=2
	v_sub_nc_u32_e32 v2, 0, v1
	s_delay_alu instid0(VALU_DEP_1) | instskip(NEXT) | instid1(VALU_DEP_1)
	v_max_i32_e32 v2, v1, v2
	v_mul_hi_u32 v12, v2, v9
	s_delay_alu instid0(VALU_DEP_1) | instskip(NEXT) | instid1(VALU_DEP_1)
	v_mul_lo_u32 v13, v12, s20
	v_sub_nc_u32_e32 v2, v2, v13
	s_delay_alu instid0(VALU_DEP_1) | instskip(SKIP_1) | instid1(VALU_DEP_2)
	v_subrev_nc_u32_e32 v14, s20, v2
	v_cmp_le_u32_e32 vcc_lo, s20, v2
	v_dual_cndmask_b32 v2, v2, v14 :: v_dual_add_nc_u32 v13, 1, v12
	s_delay_alu instid0(VALU_DEP_1) | instskip(SKIP_1) | instid1(VALU_DEP_3)
	v_cndmask_b32_e32 v12, v12, v13, vcc_lo
	v_ashrrev_i32_e32 v13, 31, v1
	v_cmp_le_u32_e32 vcc_lo, s20, v2
	s_delay_alu instid0(VALU_DEP_3) | instskip(NEXT) | instid1(VALU_DEP_3)
	v_add_nc_u32_e32 v14, 1, v12
	v_xor_b32_e32 v13, s1, v13
	s_delay_alu instid0(VALU_DEP_2) | instskip(NEXT) | instid1(VALU_DEP_1)
	v_cndmask_b32_e32 v2, v12, v14, vcc_lo
	v_xor_b32_e32 v2, v2, v13
	s_delay_alu instid0(VALU_DEP_1) | instskip(NEXT) | instid1(VALU_DEP_1)
	v_sub_nc_u32_e32 v2, v2, v13
	v_mul_lo_u32 v12, v2, s10
	v_cmp_gt_i32_e32 vcc_lo, s5, v2
	s_and_b32 s24, vcc_lo, s21
	s_delay_alu instid0(VALU_DEP_2) | instskip(NEXT) | instid1(VALU_DEP_1)
	v_sub_nc_u32_e32 v1, v1, v12
	v_cmp_eq_u32_e64 s0, 0, v1
	s_delay_alu instid0(VALU_DEP_1) | instskip(NEXT) | instid1(SALU_CYCLE_1)
	s_and_b32 s0, s0, s24
	s_and_saveexec_b32 s24, s0
	s_cbranch_execz .LBB0_6
; %bb.10:                               ;   in Loop: Header=BB0_8 Depth=2
	v_add_nc_u32_e32 v1, v2, v10
	v_mov_b32_e32 v13, v0
	s_mov_b32 s25, s8
	s_delay_alu instid0(VALU_DEP_2)
	v_mul_lo_u32 v12, v1, s4
	v_mov_b32_e32 v1, v11
	s_branch .LBB0_13
.LBB0_11:                               ;   in Loop: Header=BB0_13 Depth=3
	s_or_b32 exec_lo, exec_lo, s0
.LBB0_12:                               ;   in Loop: Header=BB0_13 Depth=3
	s_delay_alu instid0(SALU_CYCLE_1) | instskip(SKIP_3) | instid1(SALU_CYCLE_1)
	s_or_b32 exec_lo, exec_lo, s26
	v_add_nc_u32_e32 v13, -1, v13
	v_add_nc_u32_e32 v1, 1, v1
	s_add_i32 s25, s25, -1
	s_cmp_lg_u32 s25, 0
	s_cbranch_scc0 .LBB0_6
.LBB0_13:                               ;   Parent Loop BB0_4 Depth=1
                                        ;     Parent Loop BB0_8 Depth=2
                                        ; =>    This Inner Loop Header: Depth=3
	s_mov_b32 s26, exec_lo
	v_cmpx_lt_i32_e32 -1, v13
	s_cbranch_execz .LBB0_12
; %bb.14:                               ;   in Loop: Header=BB0_13 Depth=3
	v_sub_nc_u32_e32 v2, 0, v13
	s_delay_alu instid0(VALU_DEP_1) | instskip(NEXT) | instid1(VALU_DEP_1)
	v_max_i32_e32 v2, v13, v2
	v_mul_hi_u32 v14, v2, v9
	s_delay_alu instid0(VALU_DEP_1) | instskip(NEXT) | instid1(VALU_DEP_1)
	v_mul_lo_u32 v15, v14, s20
	v_sub_nc_u32_e32 v2, v2, v15
	s_delay_alu instid0(VALU_DEP_1) | instskip(SKIP_1) | instid1(VALU_DEP_2)
	v_subrev_nc_u32_e32 v16, s20, v2
	v_cmp_le_u32_e32 vcc_lo, s20, v2
	v_dual_cndmask_b32 v2, v2, v16 :: v_dual_add_nc_u32 v15, 1, v14
	s_delay_alu instid0(VALU_DEP_1) | instskip(SKIP_1) | instid1(VALU_DEP_3)
	v_cndmask_b32_e32 v14, v14, v15, vcc_lo
	v_ashrrev_i32_e32 v15, 31, v13
	v_cmp_le_u32_e32 vcc_lo, s20, v2
	s_delay_alu instid0(VALU_DEP_3) | instskip(NEXT) | instid1(VALU_DEP_3)
	v_add_nc_u32_e32 v16, 1, v14
	v_xor_b32_e32 v15, s1, v15
	s_delay_alu instid0(VALU_DEP_2) | instskip(NEXT) | instid1(VALU_DEP_1)
	v_cndmask_b32_e32 v2, v14, v16, vcc_lo
	v_xor_b32_e32 v2, v2, v15
	s_delay_alu instid0(VALU_DEP_1) | instskip(NEXT) | instid1(VALU_DEP_1)
	v_sub_nc_u32_e32 v2, v2, v15
	v_mul_lo_u32 v14, v2, s10
	v_cmp_gt_i32_e64 s0, s4, v2
	s_delay_alu instid0(VALU_DEP_2) | instskip(NEXT) | instid1(VALU_DEP_1)
	v_sub_nc_u32_e32 v14, v13, v14
	v_cmp_eq_u32_e32 vcc_lo, 0, v14
	s_delay_alu instid0(VALU_DEP_3) | instskip(NEXT) | instid1(SALU_CYCLE_1)
	s_and_b32 s27, vcc_lo, s0
	s_and_saveexec_b32 s0, s27
	s_cbranch_execz .LBB0_11
; %bb.15:                               ;   in Loop: Header=BB0_13 Depth=3
	v_add_nc_u32_e32 v14, v12, v2
	v_ashrrev_i32_e32 v2, 31, v1
	s_delay_alu instid0(VALU_DEP_2) | instskip(NEXT) | instid1(VALU_DEP_2)
	v_ashrrev_i32_e32 v15, 31, v14
	v_lshlrev_b64 v[16:17], 1, v[1:2]
	s_delay_alu instid0(VALU_DEP_2) | instskip(SKIP_1) | instid1(VALU_DEP_1)
	v_lshlrev_b64 v[14:15], 2, v[14:15]
	s_waitcnt lgkmcnt(0)
	v_add_co_u32 v14, vcc_lo, s12, v14
	s_delay_alu instid0(VALU_DEP_2) | instskip(NEXT) | instid1(VALU_DEP_4)
	v_add_co_ci_u32_e32 v15, vcc_lo, s13, v15, vcc_lo
	v_add_co_u32 v16, vcc_lo, s14, v16
	v_add_co_ci_u32_e32 v17, vcc_lo, s15, v17, vcc_lo
	global_load_b32 v2, v[14:15], off
	global_load_u16 v14, v[16:17], off
	s_waitcnt vmcnt(0)
	v_fma_mix_f32 v6, v2, v14, v6 op_sel_hi:[0,1,0]
	s_branch .LBB0_11
.LBB0_16:
	v_mov_b32_e32 v6, 0
.LBB0_17:
	s_delay_alu instid0(VALU_DEP_2) | instskip(SKIP_2) | instid1(VALU_DEP_1)
	v_mul_lo_u32 v5, v5, s19
	v_mul_lo_u32 v4, v4, s18
	v_mad_u64_u32 v[1:2], null, v3, s6, v[0:1]
	v_add3_u32 v0, v1, v4, v5
	s_delay_alu instid0(VALU_DEP_1) | instskip(NEXT) | instid1(VALU_DEP_1)
	v_ashrrev_i32_e32 v1, 31, v0
	v_lshlrev_b64 v[0:1], 2, v[0:1]
	s_waitcnt lgkmcnt(0)
	s_delay_alu instid0(VALU_DEP_1) | instskip(NEXT) | instid1(VALU_DEP_2)
	v_add_co_u32 v0, vcc_lo, s2, v0
	v_add_co_ci_u32_e32 v1, vcc_lo, s3, v1, vcc_lo
	global_store_b32 v[0:1], v6, off
.LBB0_18:
	s_nop 0
	s_sendmsg sendmsg(MSG_DEALLOC_VGPRS)
	s_endpgm
	.section	.rodata,"a",@progbits
	.p2align	6, 0x0
	.amdhsa_kernel _ZL23conv2d_transpose_kernelI6__halfEvPKfPKT_Pfiiiiiiiiii
		.amdhsa_group_segment_fixed_size 0
		.amdhsa_private_segment_fixed_size 0
		.amdhsa_kernarg_size 320
		.amdhsa_user_sgpr_count 15
		.amdhsa_user_sgpr_dispatch_ptr 0
		.amdhsa_user_sgpr_queue_ptr 0
		.amdhsa_user_sgpr_kernarg_segment_ptr 1
		.amdhsa_user_sgpr_dispatch_id 0
		.amdhsa_user_sgpr_private_segment_size 0
		.amdhsa_wavefront_size32 1
		.amdhsa_uses_dynamic_stack 0
		.amdhsa_enable_private_segment 0
		.amdhsa_system_sgpr_workgroup_id_x 1
		.amdhsa_system_sgpr_workgroup_id_y 0
		.amdhsa_system_sgpr_workgroup_id_z 0
		.amdhsa_system_sgpr_workgroup_info 0
		.amdhsa_system_vgpr_workitem_id 0
		.amdhsa_next_free_vgpr 18
		.amdhsa_next_free_sgpr 28
		.amdhsa_reserve_vcc 1
		.amdhsa_float_round_mode_32 0
		.amdhsa_float_round_mode_16_64 0
		.amdhsa_float_denorm_mode_32 3
		.amdhsa_float_denorm_mode_16_64 3
		.amdhsa_dx10_clamp 1
		.amdhsa_ieee_mode 1
		.amdhsa_fp16_overflow 0
		.amdhsa_workgroup_processor_mode 1
		.amdhsa_memory_ordered 1
		.amdhsa_forward_progress 0
		.amdhsa_shared_vgpr_count 0
		.amdhsa_exception_fp_ieee_invalid_op 0
		.amdhsa_exception_fp_denorm_src 0
		.amdhsa_exception_fp_ieee_div_zero 0
		.amdhsa_exception_fp_ieee_overflow 0
		.amdhsa_exception_fp_ieee_underflow 0
		.amdhsa_exception_fp_ieee_inexact 0
		.amdhsa_exception_int_div_zero 0
	.end_amdhsa_kernel
	.section	.text._ZL23conv2d_transpose_kernelI6__halfEvPKfPKT_Pfiiiiiiiiii,"axG",@progbits,_ZL23conv2d_transpose_kernelI6__halfEvPKfPKT_Pfiiiiiiiiii,comdat
.Lfunc_end0:
	.size	_ZL23conv2d_transpose_kernelI6__halfEvPKfPKT_Pfiiiiiiiiii, .Lfunc_end0-_ZL23conv2d_transpose_kernelI6__halfEvPKfPKT_Pfiiiiiiiiii
                                        ; -- End function
	.section	.AMDGPU.csdata,"",@progbits
; Kernel info:
; codeLenInByte = 1616
; NumSgprs: 30
; NumVgprs: 18
; ScratchSize: 0
; MemoryBound: 0
; FloatMode: 240
; IeeeMode: 1
; LDSByteSize: 0 bytes/workgroup (compile time only)
; SGPRBlocks: 3
; VGPRBlocks: 2
; NumSGPRsForWavesPerEU: 30
; NumVGPRsForWavesPerEU: 18
; Occupancy: 16
; WaveLimiterHint : 0
; COMPUTE_PGM_RSRC2:SCRATCH_EN: 0
; COMPUTE_PGM_RSRC2:USER_SGPR: 15
; COMPUTE_PGM_RSRC2:TRAP_HANDLER: 0
; COMPUTE_PGM_RSRC2:TGID_X_EN: 1
; COMPUTE_PGM_RSRC2:TGID_Y_EN: 0
; COMPUTE_PGM_RSRC2:TGID_Z_EN: 0
; COMPUTE_PGM_RSRC2:TIDIG_COMP_CNT: 0
	.section	.text._ZL23conv2d_transpose_kernelIfEvPKfPKT_Pfiiiiiiiiii,"axG",@progbits,_ZL23conv2d_transpose_kernelIfEvPKfPKT_Pfiiiiiiiiii,comdat
	.globl	_ZL23conv2d_transpose_kernelIfEvPKfPKT_Pfiiiiiiiiii ; -- Begin function _ZL23conv2d_transpose_kernelIfEvPKfPKT_Pfiiiiiiiiii
	.p2align	8
	.type	_ZL23conv2d_transpose_kernelIfEvPKfPKT_Pfiiiiiiiiii,@function
_ZL23conv2d_transpose_kernelIfEvPKfPKT_Pfiiiiiiiiii: ; @_ZL23conv2d_transpose_kernelIfEvPKfPKT_Pfiiiiiiiiii
; %bb.0:
	s_clause 0x2
	s_load_b32 s2, s[0:1], 0x4c
	s_load_b256 s[4:11], s[0:1], 0x18
	s_load_b64 s[16:17], s[0:1], 0x38
	s_waitcnt lgkmcnt(0)
	s_and_b32 s2, s2, 0xffff
	s_mul_i32 s18, s7, s6
	v_mad_u64_u32 v[1:2], null, s15, s2, v[0:1]
	s_mul_i32 s19, s18, s16
	s_delay_alu instid0(SALU_CYCLE_1)
	s_mul_i32 s2, s19, s17
	s_delay_alu instid0(VALU_DEP_1) | instid1(SALU_CYCLE_1)
	v_cmp_gt_i32_e32 vcc_lo, s2, v1
	s_and_saveexec_b32 s2, vcc_lo
	s_cbranch_execz .LBB1_18
; %bb.1:
	s_abs_i32 s3, s6
	s_abs_i32 s7, s7
	v_cvt_f32_u32_e32 v0, s3
	v_cvt_f32_u32_e32 v7, s7
	s_sub_i32 s2, 0, s3
	s_abs_i32 s12, s18
	s_abs_i32 s14, s19
	v_rcp_iflag_f32_e32 v0, v0
	v_rcp_iflag_f32_e32 v7, v7
	v_cvt_f32_u32_e32 v2, s12
	v_sub_nc_u32_e32 v6, 0, v1
	s_abs_i32 s13, s16
	v_ashrrev_i32_e32 v5, 31, v1
	v_cvt_f32_u32_e32 v8, s13
	v_rcp_iflag_f32_e32 v2, v2
	v_max_i32_e32 v6, v1, v6
	s_sub_i32 s17, 0, s7
	s_delay_alu instid0(TRANS32_DEP_2) | instskip(SKIP_3) | instid1(VALU_DEP_1)
	v_dual_mul_f32 v0, 0x4f7ffffe, v0 :: v_dual_mul_f32 v7, 0x4f7ffffe, v7
	s_sub_i32 s21, 0, s14
	s_sub_i32 s20, 0, s13
	s_ashr_i32 s15, s18, 31
	v_cvt_u32_f32_e32 v0, v0
	v_cvt_u32_f32_e32 v7, v7
	v_xor_b32_e32 v11, s15, v5
	s_delay_alu instid0(VALU_DEP_3) | instskip(SKIP_1) | instid1(VALU_DEP_1)
	v_mul_lo_u32 v3, s2, v0
	s_sub_i32 s2, 0, s12
	v_mul_hi_u32 v3, v0, v3
	s_delay_alu instid0(VALU_DEP_1) | instskip(SKIP_1) | instid1(VALU_DEP_2)
	v_add_nc_u32_e32 v0, v0, v3
	v_cvt_f32_u32_e32 v3, s14
	v_mul_hi_u32 v0, v6, v0
	s_delay_alu instid0(VALU_DEP_2) | instskip(SKIP_1) | instid1(VALU_DEP_2)
	v_rcp_iflag_f32_e32 v3, v3
	v_mul_f32_e32 v2, 0x4f7ffffe, v2
	v_mul_lo_u32 v9, v0, s3
	s_waitcnt_depctr 0xfff
	v_dual_mul_f32 v3, 0x4f7ffffe, v3 :: v_dual_add_nc_u32 v12, 1, v0
	v_cvt_u32_f32_e32 v2, v2
	s_delay_alu instid0(VALU_DEP_2) | instskip(NEXT) | instid1(VALU_DEP_2)
	v_cvt_u32_f32_e32 v3, v3
	v_mul_lo_u32 v4, s2, v2
	v_sub_nc_u32_e32 v9, v6, v9
	s_ashr_i32 s2, s6, 31
	s_delay_alu instid0(VALU_DEP_3) | instskip(NEXT) | instid1(VALU_DEP_2)
	v_mul_lo_u32 v15, s21, v3
	v_cmp_le_u32_e32 vcc_lo, s3, v9
	s_delay_alu instid0(VALU_DEP_4) | instskip(SKIP_2) | instid1(VALU_DEP_3)
	v_mul_hi_u32 v4, v2, v4
	v_cndmask_b32_e32 v0, v0, v12, vcc_lo
	v_subrev_nc_u32_e32 v12, s3, v9
	v_add_nc_u32_e32 v2, v2, v4
	v_rcp_iflag_f32_e32 v4, v8
	v_xor_b32_e32 v8, s2, v5
	s_delay_alu instid0(VALU_DEP_3) | instskip(SKIP_2) | instid1(VALU_DEP_3)
	v_cndmask_b32_e32 v9, v9, v12, vcc_lo
	v_add_nc_u32_e32 v12, 1, v0
	v_mul_hi_u32 v2, v6, v2
	v_cmp_le_u32_e32 vcc_lo, s3, v9
	s_waitcnt_depctr 0xfff
	v_dual_mul_f32 v4, 0x4f7ffffe, v4 :: v_dual_add_nc_u32 v13, 1, v2
	v_mul_lo_u32 v10, v2, s12
	v_cndmask_b32_e32 v0, v0, v12, vcc_lo
	s_delay_alu instid0(VALU_DEP_3) | instskip(NEXT) | instid1(VALU_DEP_2)
	v_cvt_u32_f32_e32 v4, v4
	v_xor_b32_e32 v0, v0, v8
	s_delay_alu instid0(VALU_DEP_2) | instskip(SKIP_1) | instid1(VALU_DEP_3)
	v_mul_lo_u32 v9, s20, v4
	v_sub_nc_u32_e32 v10, v6, v10
	v_sub_nc_u32_e32 v0, v0, v8
	s_delay_alu instid0(VALU_DEP_2) | instskip(SKIP_2) | instid1(VALU_DEP_4)
	v_cmp_le_u32_e64 s2, s12, v10
	v_subrev_nc_u32_e32 v14, s12, v10
	v_mul_hi_u32 v8, v4, v9
	v_sub_nc_u32_e32 v9, 0, v0
	s_delay_alu instid0(VALU_DEP_4) | instskip(SKIP_3) | instid1(VALU_DEP_3)
	v_cndmask_b32_e64 v2, v2, v13, s2
	v_mul_lo_u32 v13, s17, v7
	v_cndmask_b32_e64 v10, v10, v14, s2
	s_load_b64 s[2:3], s[0:1], 0x10
	v_add_nc_u32_e32 v14, 1, v2
	v_add_nc_u32_e32 v4, v4, v8
	s_delay_alu instid0(VALU_DEP_3)
	v_cmp_le_u32_e32 vcc_lo, s12, v10
	v_mul_hi_u32 v10, v3, v15
	v_mul_hi_u32 v12, v7, v13
	v_max_i32_e32 v8, v0, v9
	s_ashr_i32 s12, s19, 31
	v_cndmask_b32_e32 v2, v2, v14, vcc_lo
	v_xor_b32_e32 v5, s12, v5
	s_cmp_lt_i32 s11, 1
	v_add_nc_u32_e32 v3, v3, v10
	v_add_nc_u32_e32 v7, v7, v12
	v_xor_b32_e32 v2, v2, v11
	s_delay_alu instid0(VALU_DEP_3) | instskip(NEXT) | instid1(VALU_DEP_3)
	v_mul_hi_u32 v3, v6, v3
	v_mul_hi_u32 v7, v8, v7
	s_delay_alu instid0(VALU_DEP_3) | instskip(SKIP_1) | instid1(VALU_DEP_2)
	v_sub_nc_u32_e32 v2, v2, v11
	v_ashrrev_i32_e32 v11, 31, v0
	v_sub_nc_u32_e32 v10, 0, v2
	s_delay_alu instid0(VALU_DEP_4) | instskip(NEXT) | instid1(VALU_DEP_2)
	v_mul_lo_u32 v7, v7, s7
	v_max_i32_e32 v9, v2, v10
	v_mul_lo_u32 v10, v3, s14
	v_ashrrev_i32_e32 v2, 31, v2
	s_delay_alu instid0(VALU_DEP_3) | instskip(SKIP_1) | instid1(VALU_DEP_4)
	v_mul_hi_u32 v4, v9, v4
	v_sub_nc_u32_e32 v7, v8, v7
	v_sub_nc_u32_e32 v6, v6, v10
	v_add_nc_u32_e32 v10, 1, v3
	s_delay_alu instid0(VALU_DEP_4) | instskip(NEXT) | instid1(VALU_DEP_3)
	v_mul_lo_u32 v4, v4, s13
	v_subrev_nc_u32_e32 v8, s14, v6
	v_cmp_le_u32_e32 vcc_lo, s14, v6
	s_delay_alu instid0(VALU_DEP_4) | instskip(NEXT) | instid1(VALU_DEP_4)
	v_cndmask_b32_e32 v3, v3, v10, vcc_lo
	v_sub_nc_u32_e32 v4, v9, v4
	v_subrev_nc_u32_e32 v9, s7, v7
	v_cndmask_b32_e32 v6, v6, v8, vcc_lo
	v_cmp_le_u32_e32 vcc_lo, s7, v7
	v_add_nc_u32_e32 v8, 1, v3
	v_subrev_nc_u32_e32 v10, s13, v4
	v_cndmask_b32_e32 v7, v7, v9, vcc_lo
	v_cmp_le_u32_e32 vcc_lo, s13, v4
	v_mul_lo_u32 v9, v0, s6
	s_delay_alu instid0(VALU_DEP_4) | instskip(NEXT) | instid1(VALU_DEP_4)
	v_cndmask_b32_e32 v4, v4, v10, vcc_lo
	v_subrev_nc_u32_e32 v10, s7, v7
	v_cmp_le_u32_e32 vcc_lo, s7, v7
	s_mov_b32 s7, 0
	s_delay_alu instid0(VALU_DEP_3) | instskip(NEXT) | instid1(VALU_DEP_3)
	v_subrev_nc_u32_e32 v0, s13, v4
	v_cndmask_b32_e32 v7, v7, v10, vcc_lo
	v_cmp_le_u32_e32 vcc_lo, s13, v4
	s_delay_alu instid0(VALU_DEP_3) | instskip(SKIP_1) | instid1(VALU_DEP_4)
	v_cndmask_b32_e32 v0, v4, v0, vcc_lo
	v_cmp_le_u32_e32 vcc_lo, s14, v6
	v_xor_b32_e32 v4, v7, v11
	s_delay_alu instid0(VALU_DEP_3) | instskip(SKIP_2) | instid1(VALU_DEP_2)
	v_xor_b32_e32 v6, v0, v2
	v_cndmask_b32_e32 v3, v3, v8, vcc_lo
	v_sub_nc_u32_e32 v0, v1, v9
	v_xor_b32_e32 v7, v3, v5
	v_sub_nc_u32_e32 v3, v4, v11
	v_sub_nc_u32_e32 v4, v6, v2
	s_delay_alu instid0(VALU_DEP_3)
	v_sub_nc_u32_e32 v5, v7, v5
	s_cbranch_scc1 .LBB1_16
; %bb.2:
	s_cmp_gt_i32 s9, 0
	s_delay_alu instid0(VALU_DEP_1)
	v_mul_lo_u32 v7, v5, s11
	s_cselect_b32 s17, -1, 0
	s_cmp_lt_i32 s8, 1
	v_mov_b32_e32 v6, 0
	s_cselect_b32 s21, -1, 0
	s_abs_i32 s20, s10
	s_xor_b32 s21, s21, -1
	v_cvt_f32_u32_e32 v1, s20
	s_sub_i32 s12, 0, s20
	s_delay_alu instid0(VALU_DEP_1) | instskip(SKIP_2) | instid1(VALU_DEP_1)
	v_rcp_iflag_f32_e32 v1, v1
	s_waitcnt_depctr 0xfff
	v_mul_f32_e32 v1, 0x4f7ffffe, v1
	v_cvt_u32_f32_e32 v1, v1
	s_delay_alu instid0(VALU_DEP_1)
	v_mul_lo_u32 v2, s12, v1
	s_load_b128 s[12:15], s[0:1], 0x0
	s_mul_i32 s0, s9, s8
	s_ashr_i32 s1, s10, 31
	v_mul_lo_u32 v8, s0, v4
	s_mul_i32 s16, s0, s16
	s_delay_alu instid0(VALU_DEP_2) | instskip(NEXT) | instid1(VALU_DEP_1)
	v_mul_hi_u32 v2, v1, v2
	v_add_nc_u32_e32 v9, v1, v2
	s_branch .LBB1_4
.LBB1_3:                                ;   in Loop: Header=BB1_4 Depth=1
	s_delay_alu instid0(VALU_DEP_1) | instskip(SKIP_1) | instid1(SALU_CYCLE_1)
	v_add_nc_u32_e32 v8, s16, v8
	s_add_i32 s7, s7, 1
	s_cmp_eq_u32 s7, s11
	s_cbranch_scc1 .LBB1_17
.LBB1_4:                                ; =>This Loop Header: Depth=1
                                        ;     Child Loop BB1_8 Depth 2
                                        ;       Child Loop BB1_13 Depth 3
	s_and_not1_b32 vcc_lo, exec_lo, s17
	s_cbranch_vccnz .LBB1_3
; %bb.5:                                ;   in Loop: Header=BB1_4 Depth=1
	v_add_nc_u32_e32 v1, s7, v7
	v_mov_b32_e32 v11, v8
	s_mov_b32 s22, 0
	s_delay_alu instid0(VALU_DEP_2)
	v_mul_lo_u32 v10, v1, s5
	s_branch .LBB1_8
.LBB1_6:                                ;   in Loop: Header=BB1_8 Depth=2
	s_or_b32 exec_lo, exec_lo, s24
.LBB1_7:                                ;   in Loop: Header=BB1_8 Depth=2
	s_delay_alu instid0(SALU_CYCLE_1) | instskip(SKIP_2) | instid1(SALU_CYCLE_1)
	s_or_b32 exec_lo, exec_lo, s23
	v_add_nc_u32_e32 v11, s8, v11
	s_add_i32 s22, s22, 1
	s_cmp_eq_u32 s22, s9
	s_cbranch_scc1 .LBB1_3
.LBB1_8:                                ;   Parent Loop BB1_4 Depth=1
                                        ; =>  This Loop Header: Depth=2
                                        ;       Child Loop BB1_13 Depth 3
	v_subrev_nc_u32_e32 v1, s22, v3
	s_mov_b32 s23, exec_lo
	s_delay_alu instid0(VALU_DEP_1)
	v_cmpx_lt_i32_e32 -1, v1
	s_cbranch_execz .LBB1_7
; %bb.9:                                ;   in Loop: Header=BB1_8 Depth=2
	v_sub_nc_u32_e32 v2, 0, v1
	s_delay_alu instid0(VALU_DEP_1) | instskip(NEXT) | instid1(VALU_DEP_1)
	v_max_i32_e32 v2, v1, v2
	v_mul_hi_u32 v12, v2, v9
	s_delay_alu instid0(VALU_DEP_1) | instskip(NEXT) | instid1(VALU_DEP_1)
	v_mul_lo_u32 v13, v12, s20
	v_sub_nc_u32_e32 v2, v2, v13
	s_delay_alu instid0(VALU_DEP_1) | instskip(SKIP_1) | instid1(VALU_DEP_2)
	v_subrev_nc_u32_e32 v14, s20, v2
	v_cmp_le_u32_e32 vcc_lo, s20, v2
	v_dual_cndmask_b32 v2, v2, v14 :: v_dual_add_nc_u32 v13, 1, v12
	s_delay_alu instid0(VALU_DEP_1) | instskip(SKIP_1) | instid1(VALU_DEP_3)
	v_cndmask_b32_e32 v12, v12, v13, vcc_lo
	v_ashrrev_i32_e32 v13, 31, v1
	v_cmp_le_u32_e32 vcc_lo, s20, v2
	s_delay_alu instid0(VALU_DEP_3) | instskip(NEXT) | instid1(VALU_DEP_3)
	v_add_nc_u32_e32 v14, 1, v12
	v_xor_b32_e32 v13, s1, v13
	s_delay_alu instid0(VALU_DEP_2) | instskip(NEXT) | instid1(VALU_DEP_1)
	v_cndmask_b32_e32 v2, v12, v14, vcc_lo
	v_xor_b32_e32 v2, v2, v13
	s_delay_alu instid0(VALU_DEP_1) | instskip(NEXT) | instid1(VALU_DEP_1)
	v_sub_nc_u32_e32 v2, v2, v13
	v_mul_lo_u32 v12, v2, s10
	v_cmp_gt_i32_e32 vcc_lo, s5, v2
	s_and_b32 s24, vcc_lo, s21
	s_delay_alu instid0(VALU_DEP_2) | instskip(NEXT) | instid1(VALU_DEP_1)
	v_sub_nc_u32_e32 v1, v1, v12
	v_cmp_eq_u32_e64 s0, 0, v1
	s_delay_alu instid0(VALU_DEP_1) | instskip(NEXT) | instid1(SALU_CYCLE_1)
	s_and_b32 s0, s0, s24
	s_and_saveexec_b32 s24, s0
	s_cbranch_execz .LBB1_6
; %bb.10:                               ;   in Loop: Header=BB1_8 Depth=2
	v_add_nc_u32_e32 v1, v2, v10
	v_mov_b32_e32 v13, v0
	s_mov_b32 s25, s8
	s_delay_alu instid0(VALU_DEP_2)
	v_mul_lo_u32 v12, v1, s4
	v_mov_b32_e32 v1, v11
	s_branch .LBB1_13
.LBB1_11:                               ;   in Loop: Header=BB1_13 Depth=3
	s_or_b32 exec_lo, exec_lo, s0
.LBB1_12:                               ;   in Loop: Header=BB1_13 Depth=3
	s_delay_alu instid0(SALU_CYCLE_1) | instskip(SKIP_3) | instid1(SALU_CYCLE_1)
	s_or_b32 exec_lo, exec_lo, s26
	v_add_nc_u32_e32 v13, -1, v13
	v_add_nc_u32_e32 v1, 1, v1
	s_add_i32 s25, s25, -1
	s_cmp_lg_u32 s25, 0
	s_cbranch_scc0 .LBB1_6
.LBB1_13:                               ;   Parent Loop BB1_4 Depth=1
                                        ;     Parent Loop BB1_8 Depth=2
                                        ; =>    This Inner Loop Header: Depth=3
	s_mov_b32 s26, exec_lo
	v_cmpx_lt_i32_e32 -1, v13
	s_cbranch_execz .LBB1_12
; %bb.14:                               ;   in Loop: Header=BB1_13 Depth=3
	v_sub_nc_u32_e32 v2, 0, v13
	s_delay_alu instid0(VALU_DEP_1) | instskip(NEXT) | instid1(VALU_DEP_1)
	v_max_i32_e32 v2, v13, v2
	v_mul_hi_u32 v14, v2, v9
	s_delay_alu instid0(VALU_DEP_1) | instskip(NEXT) | instid1(VALU_DEP_1)
	v_mul_lo_u32 v15, v14, s20
	v_sub_nc_u32_e32 v2, v2, v15
	s_delay_alu instid0(VALU_DEP_1) | instskip(SKIP_1) | instid1(VALU_DEP_2)
	v_subrev_nc_u32_e32 v16, s20, v2
	v_cmp_le_u32_e32 vcc_lo, s20, v2
	v_dual_cndmask_b32 v2, v2, v16 :: v_dual_add_nc_u32 v15, 1, v14
	s_delay_alu instid0(VALU_DEP_1) | instskip(SKIP_1) | instid1(VALU_DEP_3)
	v_cndmask_b32_e32 v14, v14, v15, vcc_lo
	v_ashrrev_i32_e32 v15, 31, v13
	v_cmp_le_u32_e32 vcc_lo, s20, v2
	s_delay_alu instid0(VALU_DEP_3) | instskip(NEXT) | instid1(VALU_DEP_3)
	v_add_nc_u32_e32 v16, 1, v14
	v_xor_b32_e32 v15, s1, v15
	s_delay_alu instid0(VALU_DEP_2) | instskip(NEXT) | instid1(VALU_DEP_1)
	v_cndmask_b32_e32 v2, v14, v16, vcc_lo
	v_xor_b32_e32 v2, v2, v15
	s_delay_alu instid0(VALU_DEP_1) | instskip(NEXT) | instid1(VALU_DEP_1)
	v_sub_nc_u32_e32 v2, v2, v15
	v_mul_lo_u32 v14, v2, s10
	v_cmp_gt_i32_e64 s0, s4, v2
	s_delay_alu instid0(VALU_DEP_2) | instskip(NEXT) | instid1(VALU_DEP_1)
	v_sub_nc_u32_e32 v14, v13, v14
	v_cmp_eq_u32_e32 vcc_lo, 0, v14
	s_delay_alu instid0(VALU_DEP_3) | instskip(NEXT) | instid1(SALU_CYCLE_1)
	s_and_b32 s27, vcc_lo, s0
	s_and_saveexec_b32 s0, s27
	s_cbranch_execz .LBB1_11
; %bb.15:                               ;   in Loop: Header=BB1_13 Depth=3
	v_add_nc_u32_e32 v14, v12, v2
	v_ashrrev_i32_e32 v2, 31, v1
	s_delay_alu instid0(VALU_DEP_2) | instskip(NEXT) | instid1(VALU_DEP_2)
	v_ashrrev_i32_e32 v15, 31, v14
	v_lshlrev_b64 v[16:17], 2, v[1:2]
	s_delay_alu instid0(VALU_DEP_2) | instskip(SKIP_1) | instid1(VALU_DEP_1)
	v_lshlrev_b64 v[14:15], 2, v[14:15]
	s_waitcnt lgkmcnt(0)
	v_add_co_u32 v14, vcc_lo, s12, v14
	s_delay_alu instid0(VALU_DEP_2) | instskip(NEXT) | instid1(VALU_DEP_4)
	v_add_co_ci_u32_e32 v15, vcc_lo, s13, v15, vcc_lo
	v_add_co_u32 v16, vcc_lo, s14, v16
	v_add_co_ci_u32_e32 v17, vcc_lo, s15, v17, vcc_lo
	global_load_b32 v2, v[14:15], off
	global_load_b32 v14, v[16:17], off
	s_waitcnt vmcnt(0)
	v_fmac_f32_e32 v6, v2, v14
	s_branch .LBB1_11
.LBB1_16:
	v_mov_b32_e32 v6, 0
.LBB1_17:
	s_delay_alu instid0(VALU_DEP_2) | instskip(SKIP_2) | instid1(VALU_DEP_1)
	v_mul_lo_u32 v5, v5, s19
	v_mul_lo_u32 v4, v4, s18
	v_mad_u64_u32 v[1:2], null, v3, s6, v[0:1]
	v_add3_u32 v0, v1, v4, v5
	s_delay_alu instid0(VALU_DEP_1) | instskip(NEXT) | instid1(VALU_DEP_1)
	v_ashrrev_i32_e32 v1, 31, v0
	v_lshlrev_b64 v[0:1], 2, v[0:1]
	s_waitcnt lgkmcnt(0)
	s_delay_alu instid0(VALU_DEP_1) | instskip(NEXT) | instid1(VALU_DEP_2)
	v_add_co_u32 v0, vcc_lo, s2, v0
	v_add_co_ci_u32_e32 v1, vcc_lo, s3, v1, vcc_lo
	global_store_b32 v[0:1], v6, off
.LBB1_18:
	s_nop 0
	s_sendmsg sendmsg(MSG_DEALLOC_VGPRS)
	s_endpgm
	.section	.rodata,"a",@progbits
	.p2align	6, 0x0
	.amdhsa_kernel _ZL23conv2d_transpose_kernelIfEvPKfPKT_Pfiiiiiiiiii
		.amdhsa_group_segment_fixed_size 0
		.amdhsa_private_segment_fixed_size 0
		.amdhsa_kernarg_size 320
		.amdhsa_user_sgpr_count 15
		.amdhsa_user_sgpr_dispatch_ptr 0
		.amdhsa_user_sgpr_queue_ptr 0
		.amdhsa_user_sgpr_kernarg_segment_ptr 1
		.amdhsa_user_sgpr_dispatch_id 0
		.amdhsa_user_sgpr_private_segment_size 0
		.amdhsa_wavefront_size32 1
		.amdhsa_uses_dynamic_stack 0
		.amdhsa_enable_private_segment 0
		.amdhsa_system_sgpr_workgroup_id_x 1
		.amdhsa_system_sgpr_workgroup_id_y 0
		.amdhsa_system_sgpr_workgroup_id_z 0
		.amdhsa_system_sgpr_workgroup_info 0
		.amdhsa_system_vgpr_workitem_id 0
		.amdhsa_next_free_vgpr 18
		.amdhsa_next_free_sgpr 28
		.amdhsa_reserve_vcc 1
		.amdhsa_float_round_mode_32 0
		.amdhsa_float_round_mode_16_64 0
		.amdhsa_float_denorm_mode_32 3
		.amdhsa_float_denorm_mode_16_64 3
		.amdhsa_dx10_clamp 1
		.amdhsa_ieee_mode 1
		.amdhsa_fp16_overflow 0
		.amdhsa_workgroup_processor_mode 1
		.amdhsa_memory_ordered 1
		.amdhsa_forward_progress 0
		.amdhsa_shared_vgpr_count 0
		.amdhsa_exception_fp_ieee_invalid_op 0
		.amdhsa_exception_fp_denorm_src 0
		.amdhsa_exception_fp_ieee_div_zero 0
		.amdhsa_exception_fp_ieee_overflow 0
		.amdhsa_exception_fp_ieee_underflow 0
		.amdhsa_exception_fp_ieee_inexact 0
		.amdhsa_exception_int_div_zero 0
	.end_amdhsa_kernel
	.section	.text._ZL23conv2d_transpose_kernelIfEvPKfPKT_Pfiiiiiiiiii,"axG",@progbits,_ZL23conv2d_transpose_kernelIfEvPKfPKT_Pfiiiiiiiiii,comdat
.Lfunc_end1:
	.size	_ZL23conv2d_transpose_kernelIfEvPKfPKT_Pfiiiiiiiiii, .Lfunc_end1-_ZL23conv2d_transpose_kernelIfEvPKfPKT_Pfiiiiiiiiii
                                        ; -- End function
	.section	.AMDGPU.csdata,"",@progbits
; Kernel info:
; codeLenInByte = 1612
; NumSgprs: 30
; NumVgprs: 18
; ScratchSize: 0
; MemoryBound: 0
; FloatMode: 240
; IeeeMode: 1
; LDSByteSize: 0 bytes/workgroup (compile time only)
; SGPRBlocks: 3
; VGPRBlocks: 2
; NumSGPRsForWavesPerEU: 30
; NumVGPRsForWavesPerEU: 18
; Occupancy: 16
; WaveLimiterHint : 0
; COMPUTE_PGM_RSRC2:SCRATCH_EN: 0
; COMPUTE_PGM_RSRC2:USER_SGPR: 15
; COMPUTE_PGM_RSRC2:TRAP_HANDLER: 0
; COMPUTE_PGM_RSRC2:TGID_X_EN: 1
; COMPUTE_PGM_RSRC2:TGID_Y_EN: 0
; COMPUTE_PGM_RSRC2:TGID_Z_EN: 0
; COMPUTE_PGM_RSRC2:TIDIG_COMP_CNT: 0
	.text
	.p2alignl 7, 3214868480
	.fill 96, 4, 3214868480
	.type	__hip_cuid_a70089fac819966a,@object ; @__hip_cuid_a70089fac819966a
	.section	.bss,"aw",@nobits
	.globl	__hip_cuid_a70089fac819966a
__hip_cuid_a70089fac819966a:
	.byte	0                               ; 0x0
	.size	__hip_cuid_a70089fac819966a, 1

	.ident	"AMD clang version 19.0.0git (https://github.com/RadeonOpenCompute/llvm-project roc-6.4.0 25133 c7fe45cf4b819c5991fe208aaa96edf142730f1d)"
	.section	".note.GNU-stack","",@progbits
	.addrsig
	.addrsig_sym __hip_cuid_a70089fac819966a
	.amdgpu_metadata
---
amdhsa.kernels:
  - .args:
      - .actual_access:  read_only
        .address_space:  global
        .offset:         0
        .size:           8
        .value_kind:     global_buffer
      - .actual_access:  read_only
        .address_space:  global
        .offset:         8
        .size:           8
        .value_kind:     global_buffer
      - .actual_access:  write_only
        .address_space:  global
        .offset:         16
        .size:           8
        .value_kind:     global_buffer
      - .offset:         24
        .size:           4
        .value_kind:     by_value
      - .offset:         28
        .size:           4
        .value_kind:     by_value
      - .offset:         32
        .size:           4
        .value_kind:     by_value
      - .offset:         36
        .size:           4
        .value_kind:     by_value
      - .offset:         40
        .size:           4
        .value_kind:     by_value
      - .offset:         44
        .size:           4
        .value_kind:     by_value
      - .offset:         48
        .size:           4
        .value_kind:     by_value
      - .offset:         52
        .size:           4
        .value_kind:     by_value
      - .offset:         56
        .size:           4
        .value_kind:     by_value
      - .offset:         60
        .size:           4
        .value_kind:     by_value
      - .offset:         64
        .size:           4
        .value_kind:     hidden_block_count_x
      - .offset:         68
        .size:           4
        .value_kind:     hidden_block_count_y
      - .offset:         72
        .size:           4
        .value_kind:     hidden_block_count_z
      - .offset:         76
        .size:           2
        .value_kind:     hidden_group_size_x
      - .offset:         78
        .size:           2
        .value_kind:     hidden_group_size_y
      - .offset:         80
        .size:           2
        .value_kind:     hidden_group_size_z
      - .offset:         82
        .size:           2
        .value_kind:     hidden_remainder_x
      - .offset:         84
        .size:           2
        .value_kind:     hidden_remainder_y
      - .offset:         86
        .size:           2
        .value_kind:     hidden_remainder_z
      - .offset:         104
        .size:           8
        .value_kind:     hidden_global_offset_x
      - .offset:         112
        .size:           8
        .value_kind:     hidden_global_offset_y
      - .offset:         120
        .size:           8
        .value_kind:     hidden_global_offset_z
      - .offset:         128
        .size:           2
        .value_kind:     hidden_grid_dims
    .group_segment_fixed_size: 0
    .kernarg_segment_align: 8
    .kernarg_segment_size: 320
    .language:       OpenCL C
    .language_version:
      - 2
      - 0
    .max_flat_workgroup_size: 1024
    .name:           _ZL23conv2d_transpose_kernelI6__halfEvPKfPKT_Pfiiiiiiiiii
    .private_segment_fixed_size: 0
    .sgpr_count:     30
    .sgpr_spill_count: 0
    .symbol:         _ZL23conv2d_transpose_kernelI6__halfEvPKfPKT_Pfiiiiiiiiii.kd
    .uniform_work_group_size: 1
    .uses_dynamic_stack: false
    .vgpr_count:     18
    .vgpr_spill_count: 0
    .wavefront_size: 32
    .workgroup_processor_mode: 1
  - .args:
      - .actual_access:  read_only
        .address_space:  global
        .offset:         0
        .size:           8
        .value_kind:     global_buffer
      - .actual_access:  read_only
        .address_space:  global
        .offset:         8
        .size:           8
        .value_kind:     global_buffer
      - .actual_access:  write_only
        .address_space:  global
        .offset:         16
        .size:           8
        .value_kind:     global_buffer
      - .offset:         24
        .size:           4
        .value_kind:     by_value
      - .offset:         28
        .size:           4
        .value_kind:     by_value
      - .offset:         32
        .size:           4
        .value_kind:     by_value
      - .offset:         36
        .size:           4
        .value_kind:     by_value
      - .offset:         40
        .size:           4
        .value_kind:     by_value
      - .offset:         44
        .size:           4
        .value_kind:     by_value
      - .offset:         48
        .size:           4
        .value_kind:     by_value
      - .offset:         52
        .size:           4
        .value_kind:     by_value
      - .offset:         56
        .size:           4
        .value_kind:     by_value
      - .offset:         60
        .size:           4
        .value_kind:     by_value
      - .offset:         64
        .size:           4
        .value_kind:     hidden_block_count_x
      - .offset:         68
        .size:           4
        .value_kind:     hidden_block_count_y
      - .offset:         72
        .size:           4
        .value_kind:     hidden_block_count_z
      - .offset:         76
        .size:           2
        .value_kind:     hidden_group_size_x
      - .offset:         78
        .size:           2
        .value_kind:     hidden_group_size_y
      - .offset:         80
        .size:           2
        .value_kind:     hidden_group_size_z
      - .offset:         82
        .size:           2
        .value_kind:     hidden_remainder_x
      - .offset:         84
        .size:           2
        .value_kind:     hidden_remainder_y
      - .offset:         86
        .size:           2
        .value_kind:     hidden_remainder_z
      - .offset:         104
        .size:           8
        .value_kind:     hidden_global_offset_x
      - .offset:         112
        .size:           8
        .value_kind:     hidden_global_offset_y
      - .offset:         120
        .size:           8
        .value_kind:     hidden_global_offset_z
      - .offset:         128
        .size:           2
        .value_kind:     hidden_grid_dims
    .group_segment_fixed_size: 0
    .kernarg_segment_align: 8
    .kernarg_segment_size: 320
    .language:       OpenCL C
    .language_version:
      - 2
      - 0
    .max_flat_workgroup_size: 1024
    .name:           _ZL23conv2d_transpose_kernelIfEvPKfPKT_Pfiiiiiiiiii
    .private_segment_fixed_size: 0
    .sgpr_count:     30
    .sgpr_spill_count: 0
    .symbol:         _ZL23conv2d_transpose_kernelIfEvPKfPKT_Pfiiiiiiiiii.kd
    .uniform_work_group_size: 1
    .uses_dynamic_stack: false
    .vgpr_count:     18
    .vgpr_spill_count: 0
    .wavefront_size: 32
    .workgroup_processor_mode: 1
amdhsa.target:   amdgcn-amd-amdhsa--gfx1100
amdhsa.version:
  - 1
  - 2
...

	.end_amdgpu_metadata
